;; amdgpu-corpus repo=ROCm/rocFFT kind=compiled arch=gfx906 opt=O3
	.text
	.amdgcn_target "amdgcn-amd-amdhsa--gfx906"
	.amdhsa_code_object_version 6
	.protected	fft_rtc_back_len168_factors_2_6_7_2_wgs_140_tpt_14_dim2_sp_ip_CI_sbcc_twdbase8_2step_dirReg ; -- Begin function fft_rtc_back_len168_factors_2_6_7_2_wgs_140_tpt_14_dim2_sp_ip_CI_sbcc_twdbase8_2step_dirReg
	.globl	fft_rtc_back_len168_factors_2_6_7_2_wgs_140_tpt_14_dim2_sp_ip_CI_sbcc_twdbase8_2step_dirReg
	.p2align	8
	.type	fft_rtc_back_len168_factors_2_6_7_2_wgs_140_tpt_14_dim2_sp_ip_CI_sbcc_twdbase8_2step_dirReg,@function
fft_rtc_back_len168_factors_2_6_7_2_wgs_140_tpt_14_dim2_sp_ip_CI_sbcc_twdbase8_2step_dirReg: ; @fft_rtc_back_len168_factors_2_6_7_2_wgs_140_tpt_14_dim2_sp_ip_CI_sbcc_twdbase8_2step_dirReg
; %bb.0:
	s_load_dwordx4 s[0:3], s[4:5], 0x10
	s_mov_b32 s7, 0
	s_mov_b64 s[20:21], -1
	s_waitcnt lgkmcnt(0)
	s_load_dwordx2 s[18:19], s[0:1], 0x8
	s_load_dwordx2 s[14:15], s[4:5], 0x50
	;; [unrolled: 1-line block ×3, first 2 shown]
	s_waitcnt lgkmcnt(0)
	s_add_u32 s0, s18, -1
	s_addc_u32 s1, s19, -1
	s_add_u32 s8, 0, 0x99986000
	s_addc_u32 s9, 0, 0x59
	s_add_i32 s9, s9, 0x19999940
	s_mul_hi_u32 s17, s8, -10
	s_sub_i32 s17, s17, s8
	s_mul_i32 s22, s9, -10
	s_mul_i32 s10, s8, -10
	s_add_i32 s17, s17, s22
	s_mul_hi_u32 s11, s9, s10
	s_mul_i32 s16, s9, s10
	s_mul_i32 s23, s8, s17
	s_mul_hi_u32 s10, s8, s10
	s_mul_hi_u32 s22, s8, s17
	s_add_u32 s10, s10, s23
	s_addc_u32 s22, 0, s22
	s_add_u32 s10, s10, s16
	s_mul_hi_u32 s23, s9, s17
	s_addc_u32 s10, s22, s11
	s_addc_u32 s11, s23, 0
	s_mul_i32 s16, s9, s17
	s_add_u32 s10, s10, s16
	v_mov_b32_e32 v1, s10
	s_addc_u32 s11, 0, s11
	v_add_co_u32_e32 v1, vcc, s8, v1
	s_cmp_lg_u64 vcc, 0
	s_addc_u32 s8, s9, s11
	v_readfirstlane_b32 s11, v1
	s_mul_i32 s10, s0, s8
	s_mul_hi_u32 s16, s0, s11
	s_mul_hi_u32 s9, s0, s8
	s_add_u32 s10, s16, s10
	s_addc_u32 s9, 0, s9
	s_mul_hi_u32 s17, s1, s11
	s_mul_i32 s11, s1, s11
	s_add_u32 s10, s10, s11
	s_mul_hi_u32 s16, s1, s8
	s_addc_u32 s9, s9, s17
	s_addc_u32 s10, s16, 0
	s_mul_i32 s8, s1, s8
	s_add_u32 s8, s9, s8
	s_addc_u32 s9, 0, s10
	s_add_u32 s10, s8, 1
	s_addc_u32 s11, s9, 0
	s_add_u32 s16, s8, 2
	s_mul_i32 s22, s9, 10
	s_mul_hi_u32 s23, s8, 10
	s_addc_u32 s17, s9, 0
	s_add_i32 s23, s23, s22
	s_mul_i32 s22, s8, 10
	v_mov_b32_e32 v1, s22
	v_sub_co_u32_e32 v1, vcc, s0, v1
	s_cmp_lg_u64 vcc, 0
	s_subb_u32 s0, s1, s23
	v_subrev_co_u32_e32 v2, vcc, 10, v1
	s_cmp_lg_u64 vcc, 0
	s_subb_u32 s1, s0, 0
	v_readfirstlane_b32 s22, v2
	s_cmp_gt_u32 s22, 9
	s_cselect_b32 s22, -1, 0
	s_cmp_eq_u32 s1, 0
	s_cselect_b32 s1, s22, -1
	s_cmp_lg_u32 s1, 0
	s_cselect_b32 s1, s16, s10
	s_cselect_b32 s10, s17, s11
	v_readfirstlane_b32 s11, v1
	s_cmp_gt_u32 s11, 9
	s_cselect_b32 s11, -1, 0
	s_cmp_eq_u32 s0, 0
	s_cselect_b32 s0, s11, -1
	s_cmp_lg_u32 s0, 0
	s_cselect_b32 s0, s1, s8
	s_cselect_b32 s9, s10, s9
	s_add_u32 s0, s0, 1
	s_addc_u32 s1, s9, 0
	v_mov_b32_e32 v2, s1
	v_mov_b32_e32 v1, s0
	v_cmp_lt_u64_e32 vcc, s[6:7], v[1:2]
	s_mov_b64 s[22:23], 0
	s_cbranch_vccnz .LBB0_2
; %bb.1:
	v_cvt_f32_u32_e32 v1, s0
	s_sub_i32 s7, 0, s0
	v_rcp_iflag_f32_e32 v1, v1
	v_mul_f32_e32 v1, 0x4f7ffffe, v1
	v_cvt_u32_f32_e32 v1, v1
	v_readfirstlane_b32 s8, v1
	s_mul_i32 s7, s7, s8
	s_mul_hi_u32 s7, s8, s7
	s_add_i32 s8, s8, s7
	s_mul_hi_u32 s7, s6, s8
	s_mul_i32 s9, s7, s0
	s_sub_i32 s9, s6, s9
	s_add_i32 s8, s7, 1
	s_sub_i32 s10, s9, s0
	s_cmp_ge_u32 s9, s0
	s_cselect_b32 s7, s8, s7
	s_cselect_b32 s9, s10, s9
	s_add_i32 s8, s7, 1
	s_cmp_ge_u32 s9, s0
	s_cselect_b32 s22, s8, s7
.LBB0_2:
	s_mul_i32 s1, s22, s1
	s_mul_hi_u32 s7, s22, s0
	s_load_dwordx4 s[8:11], s[2:3], 0x8
	s_add_i32 s7, s7, s1
	s_mul_i32 s0, s22, s0
	s_sub_u32 s0, s6, s0
	s_subb_u32 s1, 0, s7
	s_mul_i32 s1, s1, 10
	s_mul_hi_u32 s2, s0, 10
	s_mul_i32 s0, s0, 10
	s_add_i32 s1, s2, s1
	s_waitcnt lgkmcnt(0)
	s_mul_i32 s3, s0, s9
	s_mul_hi_u32 s6, s0, s8
	v_mul_u32_u24_e32 v1, 0x199a, v0
	s_mul_i32 s2, s1, s8
	s_add_i32 s3, s6, s3
	s_mul_i32 s6, s11, s22
	s_mul_hi_u32 s7, s10, s22
	v_lshrrev_b32_e32 v33, 16, v1
	s_add_i32 s3, s3, s2
	s_mul_i32 s2, s0, s8
	s_add_i32 s7, s7, s6
	s_mul_i32 s6, s10, s22
	v_mul_lo_u16_e32 v1, 10, v33
	s_add_u32 s2, s6, s2
	v_sub_u16_e32 v31, v0, v1
	s_addc_u32 s3, s7, s3
	v_mov_b32_e32 v1, s1
	v_add_co_u32_e32 v21, vcc, s0, v31
	s_load_dwordx2 s[16:17], s[4:5], 0x0
	v_addc_co_u32_e32 v22, vcc, 0, v1, vcc
	s_add_u32 s0, s0, 10
	v_mov_b32_e32 v1, s18
	s_addc_u32 s1, s1, 0
	v_mov_b32_e32 v2, s19
	v_cmp_gt_u64_e32 vcc, s[0:1], v[1:2]
	v_cmp_le_u64_e64 s[0:1], s[0:1], v[1:2]
	s_cbranch_vccz .LBB0_8
; %bb.3:
	v_cmp_le_u64_e32 vcc, s[18:19], v[21:22]
                                        ; implicit-def: $vgpr32
                                        ; implicit-def: $vgpr34
                                        ; implicit-def: $vgpr35
                                        ; implicit-def: $vgpr36
                                        ; implicit-def: $vgpr37
	s_and_saveexec_b64 s[6:7], vcc
	s_xor_b64 s[6:7], exec, s[6:7]
; %bb.4:
	v_add_u32_e32 v32, 14, v33
	v_add_u32_e32 v34, 28, v33
	;; [unrolled: 1-line block ×5, first 2 shown]
; %bb.5:
	s_or_saveexec_b64 s[6:7], s[6:7]
                                        ; implicit-def: $vgpr1
                                        ; implicit-def: $vgpr9
                                        ; implicit-def: $vgpr17
                                        ; implicit-def: $vgpr11
                                        ; implicit-def: $vgpr23
                                        ; implicit-def: $vgpr19
                                        ; implicit-def: $vgpr15
                                        ; implicit-def: $vgpr13
                                        ; implicit-def: $vgpr25
                                        ; implicit-def: $vgpr3
                                        ; implicit-def: $vgpr7
                                        ; implicit-def: $vgpr5
	s_xor_b64 exec, exec, s[6:7]
	s_cbranch_execz .LBB0_7
; %bb.6:
	v_mad_u64_u32 v[1:2], s[10:11], s8, v31, 0
	v_mad_u64_u32 v[3:4], s[10:11], s12, v33, 0
	v_add_u32_e32 v8, 0x54, v33
	v_add_u32_e32 v32, 14, v33
	v_mad_u64_u32 v[5:6], s[10:11], s9, v31, v[2:3]
	v_mov_b32_e32 v2, v4
	v_mad_u64_u32 v[6:7], s[10:11], s13, v33, v[2:3]
	s_lshl_b64 s[10:11], s[2:3], 3
	s_add_u32 s20, s14, s10
	s_addc_u32 s10, s15, s11
	v_mov_b32_e32 v2, v5
	v_mov_b32_e32 v4, v6
	;; [unrolled: 1-line block ×3, first 2 shown]
	v_mad_u64_u32 v[5:6], s[10:11], s12, v8, 0
	v_lshlrev_b64 v[1:2], 3, v[1:2]
	v_add_u32_e32 v34, 28, v33
	v_add_co_u32_e32 v42, vcc, s20, v1
	v_addc_co_u32_e32 v43, vcc, v7, v2, vcc
	v_lshlrev_b64 v[1:2], 3, v[3:4]
	v_mov_b32_e32 v3, v6
	v_mad_u64_u32 v[3:4], s[10:11], s13, v8, v[3:4]
	v_mad_u64_u32 v[7:8], s[10:11], s12, v32, 0
	v_add_co_u32_e32 v9, vcc, v42, v1
	v_mov_b32_e32 v6, v3
	v_mov_b32_e32 v3, v8
	v_addc_co_u32_e32 v10, vcc, v43, v2, vcc
	v_lshlrev_b64 v[1:2], 3, v[5:6]
	v_mad_u64_u32 v[3:4], s[10:11], s13, v32, v[3:4]
	v_add_u32_e32 v6, 0x62, v33
	v_mad_u64_u32 v[4:5], s[10:11], s12, v6, 0
	v_mov_b32_e32 v8, v3
	v_add_co_u32_e32 v11, vcc, v42, v1
	v_mov_b32_e32 v3, v5
	v_mad_u64_u32 v[5:6], s[10:11], s13, v6, v[3:4]
	v_addc_co_u32_e32 v12, vcc, v43, v2, vcc
	v_lshlrev_b64 v[1:2], 3, v[7:8]
	v_mad_u64_u32 v[15:16], s[10:11], s12, v34, 0
	v_add_co_u32_e32 v13, vcc, v42, v1
	v_addc_co_u32_e32 v14, vcc, v43, v2, vcc
	v_lshlrev_b64 v[1:2], 3, v[4:5]
	v_add_u32_e32 v35, 42, v33
	v_add_co_u32_e32 v17, vcc, v42, v1
	v_mov_b32_e32 v1, v16
	v_mad_u64_u32 v[19:20], s[10:11], s13, v34, v[1:2]
	v_add_u32_e32 v20, 0x70, v33
	v_mad_u64_u32 v[23:24], s[10:11], s12, v20, 0
	v_addc_co_u32_e32 v18, vcc, v43, v2, vcc
	global_load_dwordx2 v[5:6], v[9:10], off
	global_load_dwordx2 v[7:8], v[11:12], off
	;; [unrolled: 1-line block ×4, first 2 shown]
	v_mov_b32_e32 v11, v24
	v_mad_u64_u32 v[11:12], s[10:11], s13, v20, v[11:12]
	v_mad_u64_u32 v[12:13], s[10:11], s12, v35, 0
	v_mov_b32_e32 v16, v19
	v_mov_b32_e32 v24, v11
	;; [unrolled: 1-line block ×3, first 2 shown]
	v_lshlrev_b64 v[9:10], 3, v[15:16]
	v_mad_u64_u32 v[13:14], s[10:11], s13, v35, v[11:12]
	v_add_u32_e32 v16, 0x7e, v33
	v_mad_u64_u32 v[14:15], s[10:11], s12, v16, 0
	v_add_co_u32_e32 v17, vcc, v42, v9
	v_addc_co_u32_e32 v18, vcc, v43, v10, vcc
	v_lshlrev_b64 v[9:10], 3, v[23:24]
	v_mov_b32_e32 v11, v15
	v_add_co_u32_e32 v19, vcc, v42, v9
	v_addc_co_u32_e32 v20, vcc, v43, v10, vcc
	v_lshlrev_b64 v[9:10], 3, v[12:13]
	v_mad_u64_u32 v[11:12], s[10:11], s13, v16, v[11:12]
	v_add_u32_e32 v36, 56, v33
	v_mad_u64_u32 v[12:13], s[10:11], s12, v36, 0
	v_add_co_u32_e32 v23, vcc, v42, v9
	v_mov_b32_e32 v15, v11
	v_mov_b32_e32 v11, v13
	v_addc_co_u32_e32 v24, vcc, v43, v10, vcc
	v_lshlrev_b64 v[9:10], 3, v[14:15]
	v_mad_u64_u32 v[13:14], s[10:11], s13, v36, v[11:12]
	v_add_u32_e32 v16, 0x8c, v33
	v_mad_u64_u32 v[14:15], s[10:11], s12, v16, 0
	v_add_co_u32_e32 v27, vcc, v42, v9
	v_mov_b32_e32 v11, v15
	v_addc_co_u32_e32 v28, vcc, v43, v10, vcc
	v_lshlrev_b64 v[9:10], 3, v[12:13]
	v_mad_u64_u32 v[11:12], s[10:11], s13, v16, v[11:12]
	v_add_u32_e32 v37, 0x46, v33
	v_mad_u64_u32 v[12:13], s[10:11], s12, v37, 0
	v_add_co_u32_e32 v29, vcc, v42, v9
	v_mov_b32_e32 v15, v11
	v_mov_b32_e32 v11, v13
	v_addc_co_u32_e32 v30, vcc, v43, v10, vcc
	v_lshlrev_b64 v[9:10], 3, v[14:15]
	v_mad_u64_u32 v[13:14], s[10:11], s13, v37, v[11:12]
	v_add_co_u32_e32 v38, vcc, v42, v9
	v_addc_co_u32_e32 v39, vcc, v43, v10, vcc
	v_lshlrev_b64 v[9:10], 3, v[12:13]
	v_add_u32_e32 v13, 0x9a, v33
	v_mad_u64_u32 v[11:12], s[10:11], s12, v13, 0
	v_add_co_u32_e32 v40, vcc, v42, v9
	v_mov_b32_e32 v9, v12
	v_mad_u64_u32 v[12:13], s[10:11], s13, v13, v[9:10]
	v_addc_co_u32_e32 v41, vcc, v43, v10, vcc
	v_lshlrev_b64 v[11:12], 3, v[11:12]
	global_load_dwordx2 v[25:26], v[17:18], off
	global_load_dwordx2 v[9:10], v[19:20], off
	;; [unrolled: 1-line block ×4, first 2 shown]
	v_add_co_u32_e32 v27, vcc, v42, v11
	v_addc_co_u32_e32 v28, vcc, v43, v12, vcc
	global_load_dwordx2 v[19:20], v[29:30], off
	global_load_dwordx2 v[23:24], v[38:39], off
	global_load_dwordx2 v[11:12], v[40:41], off
	global_load_dwordx2 v[17:18], v[27:28], off
.LBB0_7:
	s_or_b64 exec, exec, s[6:7]
	s_cbranch_execz .LBB0_9
	s_branch .LBB0_10
.LBB0_8:
                                        ; implicit-def: $vgpr1
                                        ; implicit-def: $vgpr9
                                        ; implicit-def: $vgpr17
                                        ; implicit-def: $vgpr11
                                        ; implicit-def: $vgpr23
                                        ; implicit-def: $vgpr19
                                        ; implicit-def: $vgpr15
                                        ; implicit-def: $vgpr13
                                        ; implicit-def: $vgpr32
                                        ; implicit-def: $vgpr34
                                        ; implicit-def: $vgpr35
                                        ; implicit-def: $vgpr36
                                        ; implicit-def: $vgpr37
                                        ; implicit-def: $vgpr25
                                        ; implicit-def: $vgpr3
                                        ; implicit-def: $vgpr7
                                        ; implicit-def: $vgpr5
	s_andn2_b64 vcc, exec, s[20:21]
	s_cbranch_vccnz .LBB0_10
.LBB0_9:
	s_waitcnt vmcnt(8)
	v_mad_u64_u32 v[1:2], s[6:7], s8, v31, 0
	v_mad_u64_u32 v[3:4], s[6:7], s12, v33, 0
	v_add_u32_e32 v8, 0x54, v33
	v_add_u32_e32 v32, 14, v33
	v_mad_u64_u32 v[5:6], s[6:7], s9, v31, v[2:3]
	v_mov_b32_e32 v2, v4
	v_mad_u64_u32 v[6:7], s[6:7], s13, v33, v[2:3]
	s_lshl_b64 s[6:7], s[2:3], 3
	s_add_u32 s10, s14, s6
	s_addc_u32 s6, s15, s7
	v_mov_b32_e32 v2, v5
	v_mov_b32_e32 v4, v6
	;; [unrolled: 1-line block ×3, first 2 shown]
	v_mad_u64_u32 v[5:6], s[6:7], s12, v8, 0
	v_lshlrev_b64 v[1:2], 3, v[1:2]
	v_add_u32_e32 v34, 28, v33
	s_waitcnt vmcnt(6)
	v_add_co_u32_e32 v9, vcc, s10, v1
	v_addc_co_u32_e32 v10, vcc, v7, v2, vcc
	v_lshlrev_b64 v[1:2], 3, v[3:4]
	v_mov_b32_e32 v3, v6
	v_mad_u64_u32 v[3:4], s[6:7], s13, v8, v[3:4]
	v_mad_u64_u32 v[7:8], s[6:7], s12, v32, 0
	v_add_co_u32_e32 v27, vcc, v9, v1
	v_mov_b32_e32 v6, v3
	v_mov_b32_e32 v3, v8
	v_addc_co_u32_e32 v28, vcc, v10, v2, vcc
	v_lshlrev_b64 v[1:2], 3, v[5:6]
	v_mad_u64_u32 v[3:4], s[6:7], s13, v32, v[3:4]
	v_add_u32_e32 v6, 0x62, v33
	v_mad_u64_u32 v[4:5], s[6:7], s12, v6, 0
	v_mov_b32_e32 v8, v3
	v_add_co_u32_e32 v29, vcc, v9, v1
	v_mov_b32_e32 v3, v5
	v_mad_u64_u32 v[5:6], s[6:7], s13, v6, v[3:4]
	v_addc_co_u32_e32 v30, vcc, v10, v2, vcc
	v_lshlrev_b64 v[1:2], 3, v[7:8]
	v_mad_u64_u32 v[6:7], s[6:7], s12, v34, 0
	v_add_co_u32_e32 v38, vcc, v9, v1
	v_mov_b32_e32 v3, v7
	v_addc_co_u32_e32 v39, vcc, v10, v2, vcc
	v_lshlrev_b64 v[1:2], 3, v[4:5]
	v_mad_u64_u32 v[3:4], s[6:7], s13, v34, v[3:4]
	v_add_u32_e32 v8, 0x70, v33
	v_mad_u64_u32 v[4:5], s[6:7], s12, v8, 0
	v_add_co_u32_e32 v40, vcc, v9, v1
	v_mov_b32_e32 v7, v3
	v_mov_b32_e32 v3, v5
	v_addc_co_u32_e32 v41, vcc, v10, v2, vcc
	v_lshlrev_b64 v[1:2], 3, v[6:7]
	v_mad_u64_u32 v[5:6], s[6:7], s13, v8, v[3:4]
	v_add_u32_e32 v35, 42, v33
	v_mad_u64_u32 v[6:7], s[6:7], s12, v35, 0
	v_add_co_u32_e32 v42, vcc, v9, v1
	v_mov_b32_e32 v3, v7
	v_addc_co_u32_e32 v43, vcc, v10, v2, vcc
	v_lshlrev_b64 v[1:2], 3, v[4:5]
	v_mad_u64_u32 v[3:4], s[6:7], s13, v35, v[3:4]
	v_add_u32_e32 v8, 0x7e, v33
	v_mad_u64_u32 v[4:5], s[6:7], s12, v8, 0
	v_add_co_u32_e32 v44, vcc, v9, v1
	v_mov_b32_e32 v7, v3
	v_mov_b32_e32 v3, v5
	v_addc_co_u32_e32 v45, vcc, v10, v2, vcc
	v_lshlrev_b64 v[1:2], 3, v[6:7]
	v_mad_u64_u32 v[5:6], s[6:7], s13, v8, v[3:4]
	v_add_u32_e32 v36, 56, v33
	v_mad_u64_u32 v[6:7], s[6:7], s12, v36, 0
	v_add_co_u32_e32 v46, vcc, v9, v1
	v_mov_b32_e32 v3, v7
	v_addc_co_u32_e32 v47, vcc, v10, v2, vcc
	v_lshlrev_b64 v[1:2], 3, v[4:5]
	v_mad_u64_u32 v[3:4], s[6:7], s13, v36, v[3:4]
	v_add_u32_e32 v8, 0x8c, v33
	v_mad_u64_u32 v[4:5], s[6:7], s12, v8, 0
	v_add_co_u32_e32 v48, vcc, v9, v1
	v_mov_b32_e32 v7, v3
	v_mov_b32_e32 v3, v5
	v_addc_co_u32_e32 v49, vcc, v10, v2, vcc
	v_lshlrev_b64 v[1:2], 3, v[6:7]
	v_mad_u64_u32 v[5:6], s[6:7], s13, v8, v[3:4]
	v_add_u32_e32 v37, 0x46, v33
	v_mad_u64_u32 v[6:7], s[6:7], s12, v37, 0
	v_add_co_u32_e32 v50, vcc, v9, v1
	v_mov_b32_e32 v3, v7
	v_addc_co_u32_e32 v51, vcc, v10, v2, vcc
	v_lshlrev_b64 v[1:2], 3, v[4:5]
	v_mad_u64_u32 v[3:4], s[6:7], s13, v37, v[3:4]
	v_add_u32_e32 v8, 0x9a, v33
	v_mad_u64_u32 v[4:5], s[6:7], s12, v8, 0
	v_add_co_u32_e32 v52, vcc, v9, v1
	v_mov_b32_e32 v7, v3
	v_mov_b32_e32 v3, v5
	v_addc_co_u32_e32 v53, vcc, v10, v2, vcc
	v_lshlrev_b64 v[1:2], 3, v[6:7]
	v_mad_u64_u32 v[5:6], s[6:7], s13, v8, v[3:4]
	v_add_co_u32_e32 v54, vcc, v9, v1
	v_addc_co_u32_e32 v55, vcc, v10, v2, vcc
	v_lshlrev_b64 v[1:2], 3, v[4:5]
	v_add_co_u32_e32 v56, vcc, v9, v1
	v_addc_co_u32_e32 v57, vcc, v10, v2, vcc
	global_load_dwordx2 v[5:6], v[27:28], off
	global_load_dwordx2 v[7:8], v[29:30], off
	;; [unrolled: 1-line block ×12, first 2 shown]
.LBB0_10:
	s_waitcnt vmcnt(10)
	v_sub_f32_e32 v7, v5, v7
	v_sub_f32_e32 v8, v6, v8
	v_mul_u32_u24_e32 v27, 0xa0, v33
	v_lshlrev_b32_e32 v38, 3, v31
	v_fma_f32 v5, v5, 2.0, -v7
	v_fma_f32 v6, v6, 2.0, -v8
	v_add3_u32 v27, 0, v27, v38
	s_waitcnt vmcnt(8)
	v_sub_f32_e32 v1, v3, v1
	v_sub_f32_e32 v2, v4, v2
	ds_write2_b64 v27, v[5:6], v[7:8] offset1:10
	v_mul_i32_i24_e32 v5, 0xa0, v32
	v_fma_f32 v3, v3, 2.0, -v1
	v_fma_f32 v4, v4, 2.0, -v2
	v_add3_u32 v5, 0, v5, v38
	ds_write2_b64 v5, v[3:4], v[1:2] offset1:10
	v_mul_i32_i24_e32 v1, 0xa0, v34
	s_waitcnt vmcnt(6)
	v_sub_f32_e32 v9, v25, v9
	v_sub_f32_e32 v10, v26, v10
	s_waitcnt vmcnt(4)
	v_sub_f32_e32 v15, v13, v15
	v_sub_f32_e32 v16, v14, v16
	v_add3_u32 v27, 0, v1, v38
	v_mul_i32_i24_e32 v1, 0xa0, v35
	v_fma_f32 v25, v25, 2.0, -v9
	v_fma_f32 v26, v26, 2.0, -v10
	;; [unrolled: 1-line block ×4, first 2 shown]
	v_add3_u32 v1, 0, v1, v38
	ds_write2_b64 v27, v[25:26], v[9:10] offset1:10
	ds_write2_b64 v1, v[13:14], v[15:16] offset1:10
	v_mul_i32_i24_e32 v1, 0xa0, v36
	s_waitcnt vmcnt(2)
	v_sub_f32_e32 v23, v19, v23
	v_sub_f32_e32 v24, v20, v24
	s_waitcnt vmcnt(0)
	v_sub_f32_e32 v17, v11, v17
	v_sub_f32_e32 v18, v12, v18
	v_add3_u32 v9, 0, v1, v38
	v_mul_i32_i24_e32 v1, 0xa0, v37
	v_fma_f32 v19, v19, 2.0, -v23
	v_fma_f32 v20, v20, 2.0, -v24
	;; [unrolled: 1-line block ×4, first 2 shown]
	v_add3_u32 v1, 0, v1, v38
	v_and_b32_e32 v45, 1, v33
	ds_write2_b64 v9, v[19:20], v[23:24] offset1:10
	ds_write2_b64 v1, v[11:12], v[17:18] offset1:10
	v_mul_u32_u24_e32 v1, 5, v45
	v_lshlrev_b32_e32 v10, 3, v1
	s_waitcnt lgkmcnt(0)
	s_barrier
	global_load_dwordx4 v[1:4], v10, s[16:17]
	global_load_dwordx4 v[5:8], v10, s[16:17] offset:16
	global_load_dwordx2 v[17:18], v10, s[16:17] offset:32
	v_mul_u32_u24_e32 v10, 0x50, v33
	s_movk_i32 s6, 0xffb0
	v_add3_u32 v39, 0, v10, v38
	v_mul_i32_i24_e32 v11, 0x50, v32
	v_mad_i32_i24 v42, v36, s6, v9
	v_add_u32_e32 v9, 0x1400, v39
	v_add_u32_e32 v13, 0x1c00, v39
	v_add3_u32 v41, 0, v11, v38
	v_mad_i32_i24 v40, v34, s6, v27
	ds_read_b64 v[19:20], v42
	ds_read2_b64 v[9:12], v9 offset0:60 offset1:200
	ds_read2_b64 v[13:16], v13 offset0:84 offset1:224
	ds_read_b64 v[23:24], v40
	ds_read_b64 v[25:26], v39 offset:12320
	ds_read_b64 v[27:28], v39 offset:3360
	ds_read_b64 v[29:30], v39
	ds_read_b64 v[43:44], v41
	s_movk_i32 s6, 0x50
	s_waitcnt vmcnt(2) lgkmcnt(4)
	v_mul_f32_e32 v46, v2, v24
	v_mul_f32_e32 v47, v2, v23
	;; [unrolled: 1-line block ×4, first 2 shown]
	s_waitcnt lgkmcnt(2)
	v_mul_f32_e32 v50, v28, v2
	v_mul_f32_e32 v2, v27, v2
	;; [unrolled: 1-line block ×4, first 2 shown]
	v_fmac_f32_e32 v46, v1, v23
	v_fma_f32 v23, v1, v24, -v47
	v_fmac_f32_e32 v48, v3, v19
	v_fma_f32 v19, v3, v20, -v49
	;; [unrolled: 2-line block ×3, first 2 shown]
	v_fmac_f32_e32 v51, v9, v3
	s_waitcnt vmcnt(1)
	v_mul_f32_e32 v9, v6, v12
	v_mul_f32_e32 v1, v6, v11
	v_fmac_f32_e32 v9, v5, v11
	v_fma_f32 v11, v5, v12, -v1
	v_mul_f32_e32 v1, v8, v15
	v_fma_f32 v12, v7, v16, -v1
	v_add_u32_e32 v1, 0x2400, v39
	v_fma_f32 v24, v10, v3, -v4
	ds_read2_b64 v[1:4], v1 offset0:108 offset1:248
	v_mul_f32_e32 v10, v8, v16
	v_fmac_f32_e32 v10, v7, v15
	v_mul_f32_e32 v15, v14, v6
	v_mul_f32_e32 v6, v13, v6
	v_fmac_f32_e32 v15, v13, v5
	v_fma_f32 v13, v14, v5, -v6
	s_waitcnt lgkmcnt(0)
	v_mul_f32_e32 v14, v2, v8
	v_fmac_f32_e32 v14, v1, v7
	v_mul_f32_e32 v1, v1, v8
	v_fma_f32 v16, v2, v7, -v1
	s_waitcnt vmcnt(0)
	v_mul_f32_e32 v1, v4, v18
	v_fmac_f32_e32 v1, v3, v17
	v_mul_f32_e32 v2, v3, v18
	v_mul_f32_e32 v27, v26, v18
	;; [unrolled: 1-line block ×3, first 2 shown]
	v_fma_f32 v2, v4, v17, -v2
	v_fmac_f32_e32 v27, v25, v17
	v_fma_f32 v17, v26, v17, -v3
	v_add_f32_e32 v3, v30, v19
	v_add_f32_e32 v18, v3, v12
	;; [unrolled: 1-line block ×4, first 2 shown]
	v_fmac_f32_e32 v30, -0.5, v3
	v_add_f32_e32 v3, v29, v48
	v_add_f32_e32 v4, v46, v9
	v_fmac_f32_e32 v46, -0.5, v7
	v_add_f32_e32 v7, v23, v11
	v_sub_f32_e32 v5, v19, v12
	v_add_f32_e32 v12, v3, v10
	v_add_f32_e32 v3, v48, v10
	v_sub_f32_e32 v6, v48, v10
	v_add_f32_e32 v10, v7, v2
	v_sub_f32_e32 v7, v11, v2
	v_add_f32_e32 v2, v11, v2
	v_fmac_f32_e32 v23, -0.5, v2
	v_sub_f32_e32 v8, v9, v1
	v_mov_b32_e32 v2, v23
	v_fma_f32 v9, -0.5, v3, v29
	v_lshrrev_b32_e32 v29, 1, v33
	v_add_f32_e32 v11, v4, v1
	v_mov_b32_e32 v1, v46
	v_fmac_f32_e32 v2, 0x3f5db3d7, v8
	v_mul_u32_u24_e32 v29, 12, v29
	v_fmac_f32_e32 v1, 0xbf5db3d7, v7
	v_mul_f32_e32 v19, 0xbf5db3d7, v2
	v_mul_f32_e32 v25, 0.5, v2
	v_mov_b32_e32 v26, v9
	v_mov_b32_e32 v28, v30
	v_or_b32_e32 v29, v29, v45
	v_fmac_f32_e32 v19, 0.5, v1
	v_fmac_f32_e32 v25, 0x3f5db3d7, v1
	v_fmac_f32_e32 v26, 0xbf5db3d7, v5
	;; [unrolled: 1-line block ×3, first 2 shown]
	v_mul_u32_u24_e32 v29, 0x50, v29
	v_add_f32_e32 v1, v12, v11
	v_add_f32_e32 v2, v18, v10
	;; [unrolled: 1-line block ×4, first 2 shown]
	v_add3_u32 v29, 0, v29, v38
	v_fmac_f32_e32 v23, 0xbf5db3d7, v8
	s_barrier
	ds_write2_b64 v29, v[1:2], v[3:4] offset1:20
	v_fmac_f32_e32 v46, 0x3f5db3d7, v7
	v_mul_f32_e32 v2, -0.5, v23
	v_fmac_f32_e32 v30, 0xbf5db3d7, v6
	v_mul_f32_e32 v1, 0xbf5db3d7, v23
	v_fmac_f32_e32 v2, 0x3f5db3d7, v46
	v_fmac_f32_e32 v9, 0x3f5db3d7, v5
	v_fmac_f32_e32 v1, -0.5, v46
	v_add_f32_e32 v6, v30, v2
	v_sub_f32_e32 v8, v30, v2
	v_add_f32_e32 v2, v24, v16
	v_add_f32_e32 v3, v15, v27
	;; [unrolled: 1-line block ×3, first 2 shown]
	v_sub_f32_e32 v7, v9, v1
	v_add_f32_e32 v1, v44, v24
	v_fmac_f32_e32 v44, -0.5, v2
	v_add_f32_e32 v2, v50, v15
	v_fmac_f32_e32 v50, -0.5, v3
	v_add_f32_e32 v3, v13, v17
	v_sub_f32_e32 v10, v18, v10
	v_add_f32_e32 v18, v20, v13
	v_fmac_f32_e32 v20, -0.5, v3
	v_sub_f32_e32 v15, v15, v27
	v_sub_f32_e32 v9, v12, v11
	;; [unrolled: 1-line block ×4, first 2 shown]
	v_mov_b32_e32 v30, v20
	v_fmac_f32_e32 v20, 0xbf5db3d7, v15
	v_add_f32_e32 v13, v51, v14
	v_sub_f32_e32 v12, v28, v25
	v_mov_b32_e32 v23, v50
	v_fmac_f32_e32 v50, 0x3f5db3d7, v19
	v_mul_f32_e32 v3, 0xbf5db3d7, v20
	v_mul_f32_e32 v4, -0.5, v20
	v_fma_f32 v13, -0.5, v13, v43
	v_sub_f32_e32 v20, v24, v16
	v_add_f32_e32 v28, v43, v51
	v_fmac_f32_e32 v3, -0.5, v50
	v_mov_b32_e32 v24, v13
	v_fmac_f32_e32 v13, 0x3f5db3d7, v20
	v_add_f32_e32 v28, v28, v14
	v_add_f32_e32 v1, v1, v16
	;; [unrolled: 1-line block ×4, first 2 shown]
	v_sub_f32_e32 v43, v51, v14
	v_add_f32_e32 v25, v13, v3
	v_sub_f32_e32 v3, v13, v3
	v_add_f32_e32 v13, v28, v2
	v_add_f32_e32 v14, v1, v16
	v_sub_f32_e32 v27, v28, v2
	v_sub_f32_e32 v28, v1, v16
	v_lshrrev_b32_e32 v1, 1, v32
	v_mul_lo_u32 v1, v1, 12
	v_fmac_f32_e32 v30, 0x3f5db3d7, v15
	v_mov_b32_e32 v46, v44
	v_fmac_f32_e32 v23, 0xbf5db3d7, v19
	v_or_b32_e32 v16, v1, v45
	v_mul_lo_u32 v16, v16, s6
	v_mul_f32_e32 v2, 0xbf5db3d7, v30
	v_mul_f32_e32 v15, 0.5, v30
	v_fmac_f32_e32 v24, 0xbf5db3d7, v20
	v_fmac_f32_e32 v46, 0x3f5db3d7, v43
	v_fmac_f32_e32 v2, 0.5, v23
	v_fmac_f32_e32 v15, 0x3f5db3d7, v23
	v_fmac_f32_e32 v4, 0x3f5db3d7, v50
	;; [unrolled: 1-line block ×3, first 2 shown]
	v_sub_f32_e32 v1, v24, v2
	v_add_f32_e32 v23, v24, v2
	v_add_f32_e32 v24, v46, v15
	ds_write2_b64 v29, v[5:6], v[9:10] offset0:40 offset1:60
	ds_write2_b64 v29, v[11:12], v[7:8] offset0:80 offset1:100
	v_add3_u32 v5, 0, v16, v38
	v_add_f32_e32 v26, v44, v4
	v_sub_f32_e32 v4, v44, v4
	v_sub_f32_e32 v2, v46, v15
	ds_write2_b64 v5, v[13:14], v[23:24] offset1:20
	ds_write2_b64 v5, v[25:26], v[27:28] offset0:40 offset1:60
	ds_write2_b64 v5, v[1:2], v[3:4] offset0:80 offset1:100
	v_add_u32_e32 v5, 0xf00, v39
	s_waitcnt lgkmcnt(0)
	s_barrier
	ds_read2_b64 v[13:16], v5 offset1:240
	v_add_u32_e32 v5, 0x1e00, v39
	ds_read2_b64 v[9:12], v39 offset1:240
	ds_read2_b64 v[17:20], v5 offset1:240
	ds_read_b64 v[29:30], v39 offset:11520
	s_movk_i32 s6, 0x64
	v_cmp_gt_u32_e32 vcc, s6, v0
                                        ; implicit-def: $vgpr8
	s_and_saveexec_b64 s[6:7], vcc
	s_cbranch_execz .LBB0_12
; %bb.11:
	v_add_u32_e32 v1, 0x1000, v39
	ds_read_b64 v[23:24], v41
	ds_read_b64 v[25:26], v39 offset:3040
	ds_read2_b32 v[27:28], v1 offset0:216 offset1:217
	v_add_u32_e32 v1, 0x1a80, v39
	v_add_u32_e32 v5, 0x2980, v39
	ds_read2_b64 v[1:4], v1 offset0:12 offset1:252
	ds_read2_b64 v[5:8], v5 offset0:12 offset1:252
.LBB0_12:
	s_or_b64 exec, exec, s[6:7]
	v_mul_lo_u16_e32 v43, 22, v33
	v_lshrrev_b16_e32 v55, 8, v43
	v_mul_lo_u16_e32 v43, 12, v55
	v_sub_u16_e32 v43, v33, v43
	v_and_b32_e32 v56, 0xff, v43
	v_mul_u32_u24_e32 v43, 6, v56
	v_lshlrev_b32_e32 v57, 3, v43
	global_load_dwordx4 v[43:46], v57, s[16:17] offset:80
	global_load_dwordx4 v[47:50], v57, s[16:17] offset:96
	;; [unrolled: 1-line block ×3, first 2 shown]
	s_mov_b32 s11, 0x3f3bfb3b
	s_mov_b32 s20, 0xbf3bfb3b
	;; [unrolled: 1-line block ×4, first 2 shown]
	s_movk_i32 s6, 0x54
	s_waitcnt vmcnt(0) lgkmcnt(0)
	s_barrier
	v_mul_f32_e32 v57, v44, v12
	v_mul_f32_e32 v44, v44, v11
	v_mul_f32_e32 v58, v46, v14
	v_mul_f32_e32 v46, v46, v13
	v_mul_f32_e32 v59, v48, v16
	v_mul_f32_e32 v48, v48, v15
	v_mul_f32_e32 v61, v52, v20
	v_mul_f32_e32 v52, v52, v19
	v_mul_f32_e32 v62, v54, v30
	v_mul_f32_e32 v54, v54, v29
	v_mul_f32_e32 v60, v50, v18
	v_mul_f32_e32 v50, v50, v17
	v_fmac_f32_e32 v57, v43, v11
	v_fma_f32 v11, v43, v12, -v44
	v_fmac_f32_e32 v58, v45, v13
	v_fma_f32 v12, v45, v14, -v46
	;; [unrolled: 2-line block ×6, first 2 shown]
	v_add_f32_e32 v17, v57, v62
	v_add_f32_e32 v18, v11, v16
	v_sub_f32_e32 v11, v11, v16
	v_add_f32_e32 v16, v58, v61
	v_add_f32_e32 v20, v12, v15
	v_sub_f32_e32 v12, v12, v15
	;; [unrolled: 3-line block ×4, first 2 shown]
	v_sub_f32_e32 v29, v58, v61
	v_sub_f32_e32 v43, v60, v59
	;; [unrolled: 1-line block ×8, first 2 shown]
	v_add_f32_e32 v14, v15, v14
	v_add_f32_e32 v15, v30, v44
	;; [unrolled: 1-line block ×3, first 2 shown]
	v_sub_f32_e32 v49, v43, v29
	v_sub_f32_e32 v29, v29, v19
	v_mul_f32_e32 v17, 0x3f4a47b2, v17
	v_mul_f32_e32 v18, 0x3f4a47b2, v18
	;; [unrolled: 1-line block ×4, first 2 shown]
	v_add_f32_e32 v10, v15, v10
	v_add_f32_e32 v48, v13, v12
	v_sub_f32_e32 v50, v13, v12
	v_sub_f32_e32 v43, v19, v43
	v_add_f32_e32 v19, v47, v19
	v_mul_f32_e32 v47, 0x3f08b237, v49
	v_mul_f32_e32 v49, 0xbf5ff5aa, v29
	v_fma_f32 v30, v45, s11, -v30
	v_fma_f32 v44, v46, s11, -v44
	;; [unrolled: 1-line block ×3, first 2 shown]
	v_fmac_f32_e32 v17, 0x3d64c772, v16
	v_fma_f32 v16, v46, s20, -v18
	v_mov_b32_e32 v46, v10
	v_sub_f32_e32 v13, v11, v13
	v_sub_f32_e32 v12, v12, v11
	v_add_f32_e32 v11, v48, v11
	v_mul_f32_e32 v48, 0x3f08b237, v50
	v_add_f32_e32 v9, v14, v9
	v_fmac_f32_e32 v18, 0x3d64c772, v20
	v_fma_f32 v20, v29, s10, -v47
	v_fmac_f32_e32 v47, 0xbeae86e6, v43
	v_fma_f32 v43, v43, s21, -v49
	v_fmac_f32_e32 v46, 0xbf955555, v15
	v_mul_f32_e32 v50, 0xbf5ff5aa, v12
	v_fma_f32 v29, v12, s10, -v48
	v_mov_b32_e32 v12, v9
	v_add_f32_e32 v51, v18, v46
	v_add_f32_e32 v18, v44, v46
	;; [unrolled: 1-line block ×3, first 2 shown]
	v_fmac_f32_e32 v20, 0xbee1c552, v19
	v_fmac_f32_e32 v43, 0xbee1c552, v19
	;; [unrolled: 1-line block ×4, first 2 shown]
	v_sub_f32_e32 v14, v44, v43
	v_add_f32_e32 v16, v20, v18
	v_sub_f32_e32 v18, v18, v20
	v_add_f32_e32 v20, v43, v44
	v_mad_u32_u24 v43, v55, s6, v56
	v_fma_f32 v49, v13, s21, -v50
	v_add_f32_e32 v50, v17, v12
	v_fmac_f32_e32 v47, 0xbee1c552, v19
	v_fmac_f32_e32 v48, 0xbee1c552, v11
	v_mul_u32_u24_e32 v43, 0x50, v43
	v_add_f32_e32 v17, v30, v12
	v_add_f32_e32 v30, v45, v12
	v_fmac_f32_e32 v29, 0xbee1c552, v11
	v_fmac_f32_e32 v49, 0xbee1c552, v11
	v_add_f32_e32 v11, v48, v50
	v_sub_f32_e32 v12, v51, v47
	v_add3_u32 v43, 0, v43, v38
	v_add_f32_e32 v13, v49, v30
	v_sub_f32_e32 v15, v17, v29
	ds_write2_b64 v43, v[9:10], v[11:12] offset1:120
	v_add_u32_e32 v9, 0x400, v43
	v_add_f32_e32 v17, v29, v17
	v_sub_f32_e32 v19, v30, v49
	ds_write2_b64 v9, v[13:14], v[15:16] offset0:112 offset1:232
	v_add_u32_e32 v9, 0xc00, v43
	v_sub_f32_e32 v29, v50, v48
	v_add_f32_e32 v30, v47, v51
	ds_write2_b64 v9, v[17:18], v[19:20] offset0:96 offset1:216
	ds_write_b64 v43, v[29:30] offset:5760
	s_and_saveexec_b64 s[6:7], vcc
	s_cbranch_execz .LBB0_14
; %bb.13:
	s_movk_i32 s22, 0xab
	v_mul_lo_u16_sdwa v9, v32, s22 dst_sel:DWORD dst_unused:UNUSED_PAD src0_sel:BYTE_0 src1_sel:DWORD
	v_lshrrev_b16_e32 v9, 11, v9
	v_mul_lo_u16_e32 v9, 12, v9
	v_sub_u16_e32 v29, v32, v9
	v_mov_b32_e32 v9, 6
	v_mul_u32_u24_sdwa v9, v29, v9 dst_sel:DWORD dst_unused:UNUSED_PAD src0_sel:BYTE_0 src1_sel:DWORD
	v_lshlrev_b32_e32 v30, 3, v9
	global_load_dwordx4 v[9:12], v30, s[16:17] offset:80
	global_load_dwordx4 v[13:16], v30, s[16:17] offset:112
	;; [unrolled: 1-line block ×3, first 2 shown]
	s_waitcnt vmcnt(2)
	v_mul_f32_e32 v30, v26, v10
	s_waitcnt vmcnt(1)
	v_mul_f32_e32 v43, v8, v16
	;; [unrolled: 2-line block ×3, first 2 shown]
	v_mul_f32_e32 v45, v2, v18
	v_mul_f32_e32 v46, v28, v12
	;; [unrolled: 1-line block ×9, first 2 shown]
	v_fmac_f32_e32 v30, v25, v9
	v_fmac_f32_e32 v43, v7, v15
	v_fmac_f32_e32 v44, v3, v19
	v_fmac_f32_e32 v45, v1, v17
	v_fmac_f32_e32 v46, v27, v11
	v_fmac_f32_e32 v47, v5, v13
	v_fma_f32 v1, v8, v15, -v16
	v_fma_f32 v3, v26, v9, -v10
	;; [unrolled: 1-line block ×6, first 2 shown]
	v_sub_f32_e32 v8, v44, v45
	v_sub_f32_e32 v9, v46, v47
	v_add_f32_e32 v10, v3, v1
	v_add_f32_e32 v11, v2, v4
	;; [unrolled: 1-line block ×6, first 2 shown]
	v_sub_f32_e32 v7, v30, v43
	v_sub_f32_e32 v16, v3, v1
	;; [unrolled: 1-line block ×5, first 2 shown]
	v_add_f32_e32 v4, v8, v9
	v_sub_f32_e32 v6, v10, v11
	v_add_f32_e32 v17, v12, v10
	v_sub_f32_e32 v18, v13, v14
	;; [unrolled: 2-line block ×3, first 2 shown]
	v_sub_f32_e32 v8, v11, v12
	v_sub_f32_e32 v19, v14, v15
	;; [unrolled: 1-line block ×4, first 2 shown]
	v_add_f32_e32 v1, v1, v5
	v_sub_f32_e32 v9, v9, v7
	v_sub_f32_e32 v10, v12, v10
	v_mul_f32_e32 v12, 0x3f08b237, v2
	v_add_f32_e32 v7, v4, v7
	v_mul_f32_e32 v4, 0x3f4a47b2, v6
	v_add_f32_e32 v6, v11, v17
	;; [unrolled: 2-line block ×4, first 2 shown]
	v_mul_f32_e32 v26, 0xbf5ff5aa, v9
	v_mov_b32_e32 v28, v12
	v_mov_b32_e32 v30, v4
	v_add_f32_e32 v2, v24, v6
	v_mov_b32_e32 v24, v11
	v_add_f32_e32 v1, v23, v14
	v_sub_f32_e32 v13, v15, v13
	v_sub_f32_e32 v15, v5, v16
	v_mul_f32_e32 v27, 0x3d64c772, v8
	v_mul_f32_e32 v17, 0x3d64c772, v19
	v_mov_b32_e32 v23, v18
	v_fma_f32 v26, v3, s21, -v26
	v_fmac_f32_e32 v28, 0xbeae86e6, v3
	v_fmac_f32_e32 v30, 0x3d64c772, v8
	v_mov_b32_e32 v8, v2
	v_fmac_f32_e32 v24, 0x3d64c772, v19
	v_mov_b32_e32 v19, v1
	v_mul_f32_e32 v5, 0xbf5ff5aa, v15
	v_fma_f32 v9, v9, s10, -v12
	v_fma_f32 v12, v15, s10, -v18
	s_movk_i32 s10, 0x50
	v_fma_f32 v4, v10, s20, -v4
	v_fmac_f32_e32 v23, 0xbeae86e6, v25
	v_fmac_f32_e32 v26, 0xbee1c552, v7
	;; [unrolled: 1-line block ×5, first 2 shown]
	v_fma_f32 v11, v13, s20, -v11
	v_fma_f32 v16, v25, s21, -v5
	;; [unrolled: 1-line block ×3, first 2 shown]
	v_fmac_f32_e32 v9, 0xbee1c552, v7
	v_fma_f32 v7, v13, s11, -v17
	v_mul_u32_u24_sdwa v15, v29, s10 dst_sel:DWORD dst_unused:UNUSED_PAD src0_sel:BYTE_0 src1_sel:DWORD
	v_fmac_f32_e32 v23, 0xbee1c552, v20
	v_add_f32_e32 v14, v30, v8
	v_add_f32_e32 v24, v24, v19
	;; [unrolled: 1-line block ×3, first 2 shown]
	v_fmac_f32_e32 v16, 0xbee1c552, v20
	v_add_f32_e32 v10, v10, v8
	v_fmac_f32_e32 v12, 0xbee1c552, v20
	v_add_f32_e32 v13, v7, v19
	v_add3_u32 v15, 0, v15, v38
	v_add_f32_e32 v30, v4, v8
	v_add_f32_e32 v4, v28, v14
	v_sub_f32_e32 v5, v11, v16
	v_sub_f32_e32 v8, v10, v9
	v_add_f32_e32 v7, v12, v13
	v_add_f32_e32 v10, v9, v10
	v_sub_f32_e32 v9, v13, v12
	v_add_f32_e32 v11, v16, v11
	v_sub_f32_e32 v14, v14, v28
	v_add_f32_e32 v13, v23, v24
	v_add_u32_e32 v16, 0x1800, v15
	v_sub_f32_e32 v12, v30, v26
	ds_write2_b64 v16, v[1:2], v[13:14] offset0:72 offset1:192
	v_add_u32_e32 v1, 0x2000, v15
	v_add_f32_e32 v6, v26, v30
	ds_write2_b64 v1, v[11:12], v[9:10] offset0:56 offset1:176
	v_add_u32_e32 v1, 0x2800, v15
	v_sub_f32_e32 v3, v24, v23
	ds_write2_b64 v1, v[7:8], v[5:6] offset0:40 offset1:160
	ds_write_b64 v15, v[3:4] offset:12480
.LBB0_14:
	s_or_b64 exec, exec, s[6:7]
	v_cmp_gt_u64_e32 vcc, s[18:19], v[21:22]
	s_waitcnt lgkmcnt(0)
	s_or_b64 s[0:1], s[0:1], vcc
	s_barrier
	s_and_saveexec_b64 s[6:7], s[0:1]
	s_cbranch_execz .LBB0_16
; %bb.15:
	v_lshrrev_b16_e32 v1, 2, v37
	v_and_b32_e32 v1, 63, v1
	v_mul_lo_u16_e32 v1, 49, v1
	v_lshrrev_b16_e32 v1, 10, v1
	v_mul_lo_u16_e32 v1, 0x54, v1
	v_sub_u16_e32 v1, v37, v1
	v_and_b32_e32 v9, 0xff, v1
	v_lshlrev_b32_e32 v1, 3, v9
	global_load_dwordx2 v[3:4], v1, s[16:17] offset:656
	v_add_u32_e32 v1, 0x54, v9
	v_mul_lo_u32 v1, v21, v1
	s_load_dwordx2 s[0:1], s[4:5], 0x8
	v_mul_lo_u32 v2, v21, v9
	v_mov_b32_e32 v57, 3
	v_lshlrev_b32_sdwa v7, v57, v1 dst_sel:DWORD dst_unused:UNUSED_PAD src0_sel:DWORD src1_sel:BYTE_0
	v_lshlrev_b32_sdwa v1, v57, v1 dst_sel:DWORD dst_unused:UNUSED_PAD src0_sel:DWORD src1_sel:BYTE_1
	v_lshlrev_b32_sdwa v8, v57, v2 dst_sel:DWORD dst_unused:UNUSED_PAD src0_sel:DWORD src1_sel:BYTE_0
	s_waitcnt lgkmcnt(0)
	global_load_dwordx2 v[5:6], v7, s[0:1]
	global_load_dwordx2 v[14:15], v1, s[0:1] offset:2048
	v_lshlrev_b32_sdwa v1, v57, v2 dst_sel:DWORD dst_unused:UNUSED_PAD src0_sel:DWORD src1_sel:BYTE_1
	s_movk_i32 s4, 0x118
	global_load_dwordx2 v[16:17], v8, s[0:1]
	global_load_dwordx2 v[18:19], v1, s[0:1] offset:2048
	v_subrev_u32_e32 v1, 28, v33
	v_cmp_gt_u32_e32 vcc, s4, v0
	v_cndmask_b32_e32 v1, v1, v36, vcc
	v_mov_b32_e32 v2, 0
	v_add_u32_e32 v10, 0x54, v1
	v_lshlrev_b64 v[7:8], 3, v[1:2]
	v_mul_lo_u32 v10, v21, v10
	v_mov_b32_e32 v20, s17
	v_add_co_u32_e32 v7, vcc, s16, v7
	v_addc_co_u32_e32 v8, vcc, v20, v8, vcc
	global_load_dwordx2 v[22:23], v[7:8], off offset:656
	v_lshlrev_b32_sdwa v7, v57, v10 dst_sel:DWORD dst_unused:UNUSED_PAD src0_sel:DWORD src1_sel:BYTE_0
	v_lshlrev_b32_sdwa v8, v57, v10 dst_sel:DWORD dst_unused:UNUSED_PAD src0_sel:DWORD src1_sel:BYTE_1
	global_load_dwordx2 v[24:25], v7, s[0:1]
	global_load_dwordx2 v[26:27], v8, s[0:1] offset:2048
	v_mul_lo_u32 v7, v21, v1
	s_movk_i32 s4, 0x1a4
	v_cmp_gt_u32_e32 vcc, s4, v0
	s_movk_i32 s4, 0x230
	v_lshlrev_b32_sdwa v8, v57, v7 dst_sel:DWORD dst_unused:UNUSED_PAD src0_sel:DWORD src1_sel:BYTE_0
	v_lshlrev_b32_sdwa v7, v57, v7 dst_sel:DWORD dst_unused:UNUSED_PAD src0_sel:DWORD src1_sel:BYTE_1
	global_load_dwordx2 v[28:29], v8, s[0:1]
	global_load_dwordx2 v[43:44], v7, s[0:1] offset:2048
	v_subrev_u32_e32 v7, 42, v33
	v_cndmask_b32_e32 v7, v7, v35, vcc
	v_mov_b32_e32 v8, v2
	v_lshlrev_b64 v[10:11], 3, v[7:8]
	v_add_u32_e32 v8, 0x54, v7
	v_mul_lo_u32 v8, v21, v8
	v_add_co_u32_e32 v10, vcc, s16, v10
	v_addc_co_u32_e32 v11, vcc, v20, v11, vcc
	global_load_dwordx2 v[45:46], v[10:11], off offset:656
	v_lshlrev_b32_sdwa v10, v57, v8 dst_sel:DWORD dst_unused:UNUSED_PAD src0_sel:DWORD src1_sel:BYTE_0
	v_lshlrev_b32_sdwa v8, v57, v8 dst_sel:DWORD dst_unused:UNUSED_PAD src0_sel:DWORD src1_sel:BYTE_1
	global_load_dwordx2 v[47:48], v10, s[0:1]
	global_load_dwordx2 v[49:50], v8, s[0:1] offset:2048
	v_mul_lo_u32 v30, v21, v7
	v_mul_i32_i24_e32 v8, 0x50, v37
	v_add_u32_e32 v10, 0x2a00, v39
	v_add3_u32 v8, 0, v8, v38
	ds_read2_b64 v[10:13], v10 offset0:56 offset1:196
	ds_read_b64 v[51:52], v8
	v_lshlrev_b32_sdwa v8, v57, v30 dst_sel:DWORD dst_unused:UNUSED_PAD src0_sel:DWORD src1_sel:BYTE_0
	v_lshlrev_b32_sdwa v30, v57, v30 dst_sel:DWORD dst_unused:UNUSED_PAD src0_sel:DWORD src1_sel:BYTE_1
	global_load_dwordx2 v[53:54], v8, s[0:1]
	global_load_dwordx2 v[55:56], v30, s[0:1] offset:2048
	v_cmp_gt_u32_e32 vcc, s4, v0
	s_movk_i32 s4, 0x2bc
	s_waitcnt vmcnt(14) lgkmcnt(1)
	v_mul_f32_e32 v8, v12, v4
	v_mul_f32_e32 v4, v13, v4
	v_fma_f32 v8, v13, v3, -v8
	v_fmac_f32_e32 v4, v12, v3
	s_waitcnt lgkmcnt(0)
	v_sub_f32_e32 v12, v51, v4
	v_sub_f32_e32 v8, v52, v8
	v_fma_f32 v30, v51, 2.0, -v12
	v_fma_f32 v13, v52, 2.0, -v8
	s_waitcnt vmcnt(12)
	v_mul_f32_e32 v3, v6, v15
	v_mul_f32_e32 v4, v5, v15
	v_fma_f32 v15, v5, v14, -v3
	s_waitcnt vmcnt(10)
	v_mul_f32_e32 v5, v16, v19
	v_fmac_f32_e32 v4, v6, v14
	v_mul_f32_e32 v3, v17, v19
	v_fmac_f32_e32 v5, v17, v18
	v_fma_f32 v14, v16, v18, -v3
	v_mul_f32_e32 v6, v12, v4
	v_mul_f32_e32 v3, v8, v4
	;; [unrolled: 1-line block ×4, first 2 shown]
	v_fma_f32 v4, v8, v15, -v6
	v_fmac_f32_e32 v3, v12, v15
	v_fma_f32 v6, v13, v14, -v16
	ds_read_b64 v[12:13], v42
	s_waitcnt vmcnt(9)
	v_mul_f32_e32 v8, v23, v10
	v_fma_f32 v8, v22, v11, -v8
	v_mul_f32_e32 v11, v23, v11
	v_fmac_f32_e32 v11, v22, v10
	s_waitcnt lgkmcnt(0)
	v_sub_f32_e32 v10, v12, v11
	s_waitcnt vmcnt(7)
	v_mul_f32_e32 v11, v24, v27
	v_mul_f32_e32 v18, v25, v27
	v_fmac_f32_e32 v11, v25, v26
	v_fmac_f32_e32 v5, v30, v14
	v_sub_f32_e32 v8, v13, v8
	v_fma_f32 v30, v24, v26, -v18
	v_mul_f32_e32 v18, v10, v11
	s_waitcnt vmcnt(5)
	v_mul_f32_e32 v22, v28, v44
	v_fma_f32 v19, v8, v30, -v18
	v_mul_f32_e32 v18, v8, v11
	v_mul_f32_e32 v11, v29, v44
	v_fma_f32 v27, v12, 2.0, -v10
	v_fmac_f32_e32 v22, v29, v43
	v_fmac_f32_e32 v18, v10, v30
	v_fma_f32 v8, v13, 2.0, -v8
	v_fma_f32 v26, v28, v43, -v11
	v_mul_f32_e32 v10, v27, v22
	v_fma_f32 v23, v8, v26, -v10
	v_add_u32_e32 v10, 0x2000, v39
	ds_read_b64 v[14:15], v41
	ds_read_b64 v[16:17], v40
	ds_read2_b64 v[10:13], v10 offset0:96 offset1:236
	v_mul_i32_i24_e32 v24, 0x50, v35
	v_add3_u32 v24, 0, v24, v38
	ds_read_b64 v[24:25], v24
	v_mul_f32_e32 v22, v8, v22
	s_waitcnt vmcnt(4) lgkmcnt(1)
	v_mul_f32_e32 v8, v46, v12
	v_fma_f32 v8, v45, v13, -v8
	v_mul_f32_e32 v13, v46, v13
	v_fmac_f32_e32 v13, v45, v12
	s_waitcnt vmcnt(2)
	v_mul_f32_e32 v12, v47, v50
	v_fmac_f32_e32 v22, v27, v26
	s_waitcnt lgkmcnt(0)
	v_sub_f32_e32 v8, v25, v8
	v_mul_f32_e32 v26, v48, v50
	v_sub_f32_e32 v38, v24, v13
	v_fmac_f32_e32 v12, v48, v49
	v_fma_f32 v28, v47, v49, -v26
	v_mul_f32_e32 v13, v38, v12
	v_mul_f32_e32 v26, v8, v12
	v_subrev_u32_e32 v12, 56, v33
	v_fma_f32 v27, v8, v28, -v13
	v_fmac_f32_e32 v26, v38, v28
	v_cndmask_b32_e32 v28, v12, v34, vcc
	v_mov_b32_e32 v29, v2
	v_fma_f32 v8, v25, 2.0, -v8
	v_lshlrev_b64 v[12:13], 3, v[28:29]
	v_add_u32_e32 v25, 0x54, v28
	v_mul_lo_u32 v25, v21, v25
	v_add_co_u32_e32 v12, vcc, s16, v12
	v_addc_co_u32_e32 v13, vcc, v20, v13, vcc
	global_load_dwordx2 v[12:13], v[12:13], off offset:656
	v_fma_f32 v38, v24, 2.0, -v38
	v_mul_lo_u32 v24, v21, v28
	s_waitcnt vmcnt(1)
	v_mul_f32_e32 v29, v54, v56
	v_lshlrev_b32_sdwa v42, v57, v25 dst_sel:DWORD dst_unused:UNUSED_PAD src0_sel:DWORD src1_sel:BYTE_0
	v_fma_f32 v58, v53, v55, -v29
	v_lshlrev_b32_sdwa v25, v57, v25 dst_sel:DWORD dst_unused:UNUSED_PAD src0_sel:DWORD src1_sel:BYTE_1
	global_load_dwordx2 v[29:30], v42, s[0:1]
	global_load_dwordx2 v[40:41], v25, s[0:1] offset:2048
	v_lshlrev_b32_sdwa v44, v57, v24 dst_sel:DWORD dst_unused:UNUSED_PAD src0_sel:DWORD src1_sel:BYTE_0
	v_lshlrev_b32_sdwa v45, v57, v24 dst_sel:DWORD dst_unused:UNUSED_PAD src0_sel:DWORD src1_sel:BYTE_1
	global_load_dwordx2 v[24:25], v44, s[0:1]
	global_load_dwordx2 v[42:43], v45, s[0:1] offset:2048
	v_add_u32_e32 v44, 0xffffffba, v33
	v_cmp_gt_u32_e32 vcc, s4, v0
	v_cndmask_b32_e32 v44, v44, v32, vcc
	v_mov_b32_e32 v45, v2
	v_lshlrev_b64 v[45:46], 3, v[44:45]
	v_add_u32_e32 v49, 0x54, v44
	v_add_co_u32_e32 v45, vcc, s16, v45
	v_addc_co_u32_e32 v46, vcc, v20, v46, vcc
	global_load_dwordx2 v[45:46], v[45:46], off offset:656
	v_mul_lo_u32 v49, v21, v49
	v_mul_f32_e32 v47, v53, v56
	v_fmac_f32_e32 v47, v54, v55
	v_mul_f32_e32 v48, v38, v47
	v_fma_f32 v48, v8, v58, -v48
	v_mul_f32_e32 v47, v8, v47
	v_lshlrev_b32_sdwa v8, v57, v49 dst_sel:DWORD dst_unused:UNUSED_PAD src0_sel:DWORD src1_sel:BYTE_0
	v_lshlrev_b32_sdwa v53, v57, v49 dst_sel:DWORD dst_unused:UNUSED_PAD src0_sel:DWORD src1_sel:BYTE_1
	global_load_dwordx2 v[49:50], v8, s[0:1]
	global_load_dwordx2 v[51:52], v53, s[0:1] offset:2048
	v_fmac_f32_e32 v47, v38, v58
	s_movk_i32 s4, 0x348
	v_cmp_gt_u32_e32 vcc, s4, v0
	ds_read_b64 v[53:54], v39
	s_waitcnt vmcnt(7)
	v_mul_f32_e32 v8, v13, v10
	v_fma_f32 v8, v12, v11, -v8
	v_mul_f32_e32 v11, v13, v11
	v_fmac_f32_e32 v11, v12, v10
	v_sub_f32_e32 v8, v17, v8
	v_sub_f32_e32 v11, v16, v11
	s_waitcnt vmcnt(5)
	v_mul_f32_e32 v12, v29, v41
	v_mul_f32_e32 v10, v30, v41
	v_fmac_f32_e32 v12, v30, v40
	v_fma_f32 v10, v29, v40, -v10
	v_mul_f32_e32 v13, v11, v12
	v_mul_f32_e32 v29, v8, v12
	v_fma_f32 v30, v8, v10, -v13
	v_fmac_f32_e32 v29, v11, v10
	s_waitcnt vmcnt(3)
	v_mul_f32_e32 v10, v25, v43
	v_fma_f32 v38, v24, v42, -v10
	v_fma_f32 v40, v16, 2.0, -v11
	v_mul_f32_e32 v16, v24, v43
	v_add_u32_e32 v10, 0x1800, v39
	v_fmac_f32_e32 v16, v25, v42
	ds_read2_b64 v[10:13], v10 offset0:72 offset1:212
	v_fma_f32 v8, v17, 2.0, -v8
	v_mul_f32_e32 v17, v40, v16
	v_fma_f32 v17, v8, v38, -v17
	v_mul_f32_e32 v16, v8, v16
	v_mul_lo_u32 v8, v21, v44
	s_waitcnt vmcnt(2) lgkmcnt(0)
	v_mul_f32_e32 v56, v46, v13
	v_fmac_f32_e32 v16, v40, v38
	v_mul_f32_e32 v24, v46, v12
	v_lshlrev_b32_sdwa v40, v57, v8 dst_sel:DWORD dst_unused:UNUSED_PAD src0_sel:DWORD src1_sel:BYTE_0
	v_fmac_f32_e32 v56, v45, v12
	v_add_u32_e32 v12, 0xffffffac, v33
	v_fma_f32 v55, v45, v13, -v24
	v_lshlrev_b32_sdwa v8, v57, v8 dst_sel:DWORD dst_unused:UNUSED_PAD src0_sel:DWORD src1_sel:BYTE_1
	global_load_dwordx2 v[24:25], v40, s[0:1]
	global_load_dwordx2 v[38:39], v8, s[0:1] offset:2048
	v_cndmask_b32_e32 v12, v12, v33, vcc
	v_mov_b32_e32 v13, v2
	v_lshlrev_b64 v[40:41], 3, v[12:13]
	v_add_u32_e32 v2, 0x54, v12
	v_mul_lo_u32 v2, v21, v2
	v_add_co_u32_e32 v40, vcc, s16, v40
	v_addc_co_u32_e32 v41, vcc, v20, v41, vcc
	global_load_dwordx2 v[40:41], v[40:41], off offset:656
	s_waitcnt vmcnt(3)
	v_mul_f32_e32 v8, v50, v52
	v_fma_f32 v8, v49, v51, -v8
	v_mul_f32_e32 v49, v49, v52
	v_lshlrev_b32_sdwa v13, v57, v2 dst_sel:DWORD dst_unused:UNUSED_PAD src0_sel:DWORD src1_sel:BYTE_0
	v_mul_lo_u32 v33, v21, v12
	v_fmac_f32_e32 v49, v50, v51
	v_lshlrev_b32_sdwa v2, v57, v2 dst_sel:DWORD dst_unused:UNUSED_PAD src0_sel:DWORD src1_sel:BYTE_1
	global_load_dwordx2 v[42:43], v13, s[0:1]
	global_load_dwordx2 v[45:46], v2, s[0:1] offset:2048
	v_sub_f32_e32 v13, v14, v56
	v_sub_f32_e32 v2, v15, v55
	v_mul_f32_e32 v20, v13, v49
	v_fma_f32 v21, v2, v8, -v20
	v_mul_f32_e32 v20, v2, v49
	v_fmac_f32_e32 v20, v13, v8
	v_lshlrev_b32_sdwa v8, v57, v33 dst_sel:DWORD dst_unused:UNUSED_PAD src0_sel:DWORD src1_sel:BYTE_0
	v_lshlrev_b32_sdwa v33, v57, v33 dst_sel:DWORD dst_unused:UNUSED_PAD src0_sel:DWORD src1_sel:BYTE_1
	global_load_dwordx2 v[49:50], v8, s[0:1]
	global_load_dwordx2 v[51:52], v33, s[0:1] offset:2048
	v_fma_f32 v8, v14, 2.0, -v13
	v_fma_f32 v2, v15, 2.0, -v2
	v_mov_b32_e32 v33, 0xa8
	s_waitcnt vmcnt(5)
	v_mul_f32_e32 v13, v25, v39
	v_fma_f32 v15, v24, v38, -v13
	v_mul_f32_e32 v13, v24, v39
	v_fmac_f32_e32 v13, v25, v38
	v_mad_u64_u32 v[38:39], s[0:1], s8, v31, 0
	s_movk_i32 s0, 0x347
	v_mul_f32_e32 v14, v8, v13
	v_cmp_lt_u32_e32 vcc, s0, v0
	v_fma_f32 v14, v2, v15, -v14
	v_mul_f32_e32 v13, v2, v13
	s_waitcnt vmcnt(4)
	v_mul_f32_e32 v2, v41, v10
	v_cndmask_b32_e32 v0, 0, v33, vcc
	v_fma_f32 v2, v40, v11, -v2
	v_mul_f32_e32 v11, v41, v11
	v_add_u32_e32 v12, v12, v0
	v_fmac_f32_e32 v11, v40, v10
	v_mad_u64_u32 v[40:41], s[0:1], s12, v12, 0
	v_fmac_f32_e32 v13, v8, v15
	s_waitcnt vmcnt(2)
	v_mul_f32_e32 v8, v43, v46
	v_mul_f32_e32 v10, v42, v46
	v_mov_b32_e32 v0, v39
	v_sub_f32_e32 v2, v54, v2
	v_fma_f32 v8, v42, v45, -v8
	v_sub_f32_e32 v15, v53, v11
	v_fmac_f32_e32 v10, v43, v45
	v_mad_u64_u32 v[42:43], s[0:1], s9, v31, v[0:1]
	v_mov_b32_e32 v0, v41
	v_mul_f32_e32 v11, v15, v10
	v_mul_f32_e32 v10, v2, v10
	s_waitcnt vmcnt(0)
	v_mul_f32_e32 v24, v49, v52
	v_mad_u64_u32 v[45:46], s[0:1], s13, v12, v[0:1]
	v_fma_f32 v11, v2, v8, -v11
	v_fmac_f32_e32 v10, v15, v8
	v_mul_f32_e32 v8, v50, v52
	v_fma_f32 v15, v53, 2.0, -v15
	v_fmac_f32_e32 v24, v50, v51
	s_lshl_b64 s[0:1], s[2:3], 3
	v_fma_f32 v2, v54, 2.0, -v2
	v_fma_f32 v8, v49, v51, -v8
	v_mul_f32_e32 v25, v15, v24
	s_add_u32 s2, s14, s0
	v_fma_f32 v25, v2, v8, -v25
	v_mul_f32_e32 v24, v2, v24
	s_addc_u32 s0, s15, s1
	v_add_u32_e32 v2, 0x54, v12
	v_mov_b32_e32 v39, v42
	v_mov_b32_e32 v0, s0
	v_mad_u64_u32 v[42:43], s[0:1], s12, v2, 0
	v_lshlrev_b64 v[38:39], 3, v[38:39]
	v_mov_b32_e32 v41, v45
	v_add_co_u32_e32 v45, vcc, s2, v38
	v_addc_co_u32_e32 v46, vcc, v0, v39, vcc
	v_mov_b32_e32 v0, v43
	v_lshlrev_b64 v[38:39], 3, v[40:41]
	v_mad_u64_u32 v[40:41], s[0:1], s13, v2, v[0:1]
	v_sub_u32_e32 v0, v32, v44
	v_add_u32_e32 v2, v0, v32
	v_mad_u64_u32 v[31:32], s[0:1], s12, v2, 0
	v_add_co_u32_e32 v38, vcc, v45, v38
	v_fmac_f32_e32 v24, v15, v8
	v_addc_co_u32_e32 v39, vcc, v46, v39, vcc
	v_mov_b32_e32 v43, v40
	v_mov_b32_e32 v0, v32
	global_store_dwordx2 v[38:39], v[24:25], off
	v_lshlrev_b64 v[24:25], 3, v[42:43]
	v_mad_u64_u32 v[32:33], s[0:1], s13, v2, v[0:1]
	v_add_u32_e32 v2, 0x54, v2
	v_mad_u64_u32 v[38:39], s[0:1], s12, v2, 0
	v_add_co_u32_e32 v24, vcc, v45, v24
	v_addc_co_u32_e32 v25, vcc, v46, v25, vcc
	global_store_dwordx2 v[24:25], v[10:11], off
	v_lshlrev_b64 v[10:11], 3, v[31:32]
	v_mov_b32_e32 v0, v39
	v_mad_u64_u32 v[24:25], s[0:1], s13, v2, v[0:1]
	v_add_co_u32_e32 v10, vcc, v45, v10
	v_sub_u32_e32 v0, v34, v28
	v_addc_co_u32_e32 v11, vcc, v46, v11, vcc
	v_add_u32_e32 v2, v0, v34
	global_store_dwordx2 v[10:11], v[13:14], off
	v_mad_u64_u32 v[12:13], s[0:1], s12, v2, 0
	v_mov_b32_e32 v39, v24
	v_lshlrev_b64 v[10:11], 3, v[38:39]
	v_mov_b32_e32 v0, v13
	v_mad_u64_u32 v[13:14], s[0:1], s13, v2, v[0:1]
	v_add_u32_e32 v2, 0x54, v2
	v_mad_u64_u32 v[14:15], s[0:1], s12, v2, 0
	v_add_co_u32_e32 v10, vcc, v45, v10
	v_addc_co_u32_e32 v11, vcc, v46, v11, vcc
	v_mov_b32_e32 v0, v15
	global_store_dwordx2 v[10:11], v[20:21], off
	v_lshlrev_b64 v[10:11], 3, v[12:13]
	v_mad_u64_u32 v[12:13], s[0:1], s13, v2, v[0:1]
	v_sub_u32_e32 v0, v35, v7
	v_add_u32_e32 v2, v0, v35
	v_mad_u64_u32 v[7:8], s[0:1], s12, v2, 0
	v_add_co_u32_e32 v10, vcc, v45, v10
	v_mov_b32_e32 v0, v8
	v_addc_co_u32_e32 v11, vcc, v46, v11, vcc
	v_mov_b32_e32 v15, v12
	v_mad_u64_u32 v[12:13], s[0:1], s13, v2, v[0:1]
	v_add_u32_e32 v2, 0x54, v2
	global_store_dwordx2 v[10:11], v[16:17], off
	v_lshlrev_b64 v[10:11], 3, v[14:15]
	v_mad_u64_u32 v[13:14], s[0:1], s12, v2, 0
	v_add_co_u32_e32 v10, vcc, v45, v10
	v_addc_co_u32_e32 v11, vcc, v46, v11, vcc
	v_mov_b32_e32 v0, v14
	global_store_dwordx2 v[10:11], v[29:30], off
	v_mad_u64_u32 v[10:11], s[0:1], s13, v2, v[0:1]
	v_sub_u32_e32 v0, v36, v1
	v_mov_b32_e32 v8, v12
	v_mov_b32_e32 v14, v10
	v_add_u32_e32 v10, v0, v36
	v_mad_u64_u32 v[0:1], s[0:1], s12, v10, 0
	v_lshlrev_b64 v[7:8], 3, v[7:8]
	v_add_u32_e32 v12, 0x54, v10
	v_add_co_u32_e32 v7, vcc, v45, v7
	v_addc_co_u32_e32 v8, vcc, v46, v8, vcc
	v_mad_u64_u32 v[1:2], s[0:1], s13, v10, v[1:2]
	v_mad_u64_u32 v[10:11], s[0:1], s12, v12, 0
	global_store_dwordx2 v[7:8], v[47:48], off
	v_lshlrev_b64 v[7:8], 3, v[13:14]
	v_mov_b32_e32 v2, v11
	v_add_co_u32_e32 v7, vcc, v45, v7
	v_addc_co_u32_e32 v8, vcc, v46, v8, vcc
	global_store_dwordx2 v[7:8], v[26:27], off
	v_mad_u64_u32 v[7:8], s[0:1], s13, v12, v[2:3]
	v_lshlrev_b64 v[0:1], 3, v[0:1]
	v_sub_u32_e32 v2, v37, v9
	v_add_co_u32_e32 v0, vcc, v45, v0
	v_addc_co_u32_e32 v1, vcc, v46, v1, vcc
	v_mov_b32_e32 v11, v7
	global_store_dwordx2 v[0:1], v[22:23], off
	v_lshlrev_b64 v[0:1], 3, v[10:11]
	v_add_u32_e32 v10, v2, v37
	v_mad_u64_u32 v[7:8], s[0:1], s12, v10, 0
	v_add_u32_e32 v11, 0x54, v10
	v_add_co_u32_e32 v0, vcc, v45, v0
	v_mov_b32_e32 v2, v8
	v_mad_u64_u32 v[8:9], s[0:1], s13, v10, v[2:3]
	v_mad_u64_u32 v[9:10], s[0:1], s12, v11, 0
	v_addc_co_u32_e32 v1, vcc, v46, v1, vcc
	v_mov_b32_e32 v2, v10
	global_store_dwordx2 v[0:1], v[18:19], off
	v_lshlrev_b64 v[0:1], 3, v[7:8]
	v_mad_u64_u32 v[7:8], s[0:1], s13, v11, v[2:3]
	v_add_co_u32_e32 v0, vcc, v45, v0
	v_addc_co_u32_e32 v1, vcc, v46, v1, vcc
	v_mov_b32_e32 v10, v7
	global_store_dwordx2 v[0:1], v[5:6], off
	v_lshlrev_b64 v[0:1], 3, v[9:10]
	v_add_co_u32_e32 v0, vcc, v45, v0
	v_addc_co_u32_e32 v1, vcc, v46, v1, vcc
	global_store_dwordx2 v[0:1], v[3:4], off
.LBB0_16:
	s_endpgm
	.section	.rodata,"a",@progbits
	.p2align	6, 0x0
	.amdhsa_kernel fft_rtc_back_len168_factors_2_6_7_2_wgs_140_tpt_14_dim2_sp_ip_CI_sbcc_twdbase8_2step_dirReg
		.amdhsa_group_segment_fixed_size 0
		.amdhsa_private_segment_fixed_size 0
		.amdhsa_kernarg_size 88
		.amdhsa_user_sgpr_count 6
		.amdhsa_user_sgpr_private_segment_buffer 1
		.amdhsa_user_sgpr_dispatch_ptr 0
		.amdhsa_user_sgpr_queue_ptr 0
		.amdhsa_user_sgpr_kernarg_segment_ptr 1
		.amdhsa_user_sgpr_dispatch_id 0
		.amdhsa_user_sgpr_flat_scratch_init 0
		.amdhsa_user_sgpr_private_segment_size 0
		.amdhsa_uses_dynamic_stack 0
		.amdhsa_system_sgpr_private_segment_wavefront_offset 0
		.amdhsa_system_sgpr_workgroup_id_x 1
		.amdhsa_system_sgpr_workgroup_id_y 0
		.amdhsa_system_sgpr_workgroup_id_z 0
		.amdhsa_system_sgpr_workgroup_info 0
		.amdhsa_system_vgpr_workitem_id 0
		.amdhsa_next_free_vgpr 63
		.amdhsa_next_free_sgpr 24
		.amdhsa_reserve_vcc 1
		.amdhsa_reserve_flat_scratch 0
		.amdhsa_float_round_mode_32 0
		.amdhsa_float_round_mode_16_64 0
		.amdhsa_float_denorm_mode_32 3
		.amdhsa_float_denorm_mode_16_64 3
		.amdhsa_dx10_clamp 1
		.amdhsa_ieee_mode 1
		.amdhsa_fp16_overflow 0
		.amdhsa_exception_fp_ieee_invalid_op 0
		.amdhsa_exception_fp_denorm_src 0
		.amdhsa_exception_fp_ieee_div_zero 0
		.amdhsa_exception_fp_ieee_overflow 0
		.amdhsa_exception_fp_ieee_underflow 0
		.amdhsa_exception_fp_ieee_inexact 0
		.amdhsa_exception_int_div_zero 0
	.end_amdhsa_kernel
	.text
.Lfunc_end0:
	.size	fft_rtc_back_len168_factors_2_6_7_2_wgs_140_tpt_14_dim2_sp_ip_CI_sbcc_twdbase8_2step_dirReg, .Lfunc_end0-fft_rtc_back_len168_factors_2_6_7_2_wgs_140_tpt_14_dim2_sp_ip_CI_sbcc_twdbase8_2step_dirReg
                                        ; -- End function
	.section	.AMDGPU.csdata,"",@progbits
; Kernel info:
; codeLenInByte = 7584
; NumSgprs: 28
; NumVgprs: 63
; ScratchSize: 0
; MemoryBound: 0
; FloatMode: 240
; IeeeMode: 1
; LDSByteSize: 0 bytes/workgroup (compile time only)
; SGPRBlocks: 3
; VGPRBlocks: 15
; NumSGPRsForWavesPerEU: 28
; NumVGPRsForWavesPerEU: 63
; Occupancy: 4
; WaveLimiterHint : 1
; COMPUTE_PGM_RSRC2:SCRATCH_EN: 0
; COMPUTE_PGM_RSRC2:USER_SGPR: 6
; COMPUTE_PGM_RSRC2:TRAP_HANDLER: 0
; COMPUTE_PGM_RSRC2:TGID_X_EN: 1
; COMPUTE_PGM_RSRC2:TGID_Y_EN: 0
; COMPUTE_PGM_RSRC2:TGID_Z_EN: 0
; COMPUTE_PGM_RSRC2:TIDIG_COMP_CNT: 0
	.type	__hip_cuid_7b3f587ccfe3934c,@object ; @__hip_cuid_7b3f587ccfe3934c
	.section	.bss,"aw",@nobits
	.globl	__hip_cuid_7b3f587ccfe3934c
__hip_cuid_7b3f587ccfe3934c:
	.byte	0                               ; 0x0
	.size	__hip_cuid_7b3f587ccfe3934c, 1

	.ident	"AMD clang version 19.0.0git (https://github.com/RadeonOpenCompute/llvm-project roc-6.4.0 25133 c7fe45cf4b819c5991fe208aaa96edf142730f1d)"
	.section	".note.GNU-stack","",@progbits
	.addrsig
	.addrsig_sym __hip_cuid_7b3f587ccfe3934c
	.amdgpu_metadata
---
amdhsa.kernels:
  - .args:
      - .actual_access:  read_only
        .address_space:  global
        .offset:         0
        .size:           8
        .value_kind:     global_buffer
      - .address_space:  global
        .offset:         8
        .size:           8
        .value_kind:     global_buffer
      - .actual_access:  read_only
        .address_space:  global
        .offset:         16
        .size:           8
        .value_kind:     global_buffer
      - .actual_access:  read_only
        .address_space:  global
        .offset:         24
        .size:           8
        .value_kind:     global_buffer
      - .offset:         32
        .size:           8
        .value_kind:     by_value
      - .actual_access:  read_only
        .address_space:  global
        .offset:         40
        .size:           8
        .value_kind:     global_buffer
      - .actual_access:  read_only
        .address_space:  global
        .offset:         48
        .size:           8
        .value_kind:     global_buffer
      - .offset:         56
        .size:           4
        .value_kind:     by_value
      - .actual_access:  read_only
        .address_space:  global
        .offset:         64
        .size:           8
        .value_kind:     global_buffer
      - .actual_access:  read_only
        .address_space:  global
        .offset:         72
        .size:           8
        .value_kind:     global_buffer
      - .address_space:  global
        .offset:         80
        .size:           8
        .value_kind:     global_buffer
    .group_segment_fixed_size: 0
    .kernarg_segment_align: 8
    .kernarg_segment_size: 88
    .language:       OpenCL C
    .language_version:
      - 2
      - 0
    .max_flat_workgroup_size: 140
    .name:           fft_rtc_back_len168_factors_2_6_7_2_wgs_140_tpt_14_dim2_sp_ip_CI_sbcc_twdbase8_2step_dirReg
    .private_segment_fixed_size: 0
    .sgpr_count:     28
    .sgpr_spill_count: 0
    .symbol:         fft_rtc_back_len168_factors_2_6_7_2_wgs_140_tpt_14_dim2_sp_ip_CI_sbcc_twdbase8_2step_dirReg.kd
    .uniform_work_group_size: 1
    .uses_dynamic_stack: false
    .vgpr_count:     63
    .vgpr_spill_count: 0
    .wavefront_size: 64
amdhsa.target:   amdgcn-amd-amdhsa--gfx906
amdhsa.version:
  - 1
  - 2
...

	.end_amdgpu_metadata
